;; amdgpu-corpus repo=ROCm/rocFFT kind=compiled arch=gfx906 opt=O3
	.text
	.amdgcn_target "amdgcn-amd-amdhsa--gfx906"
	.amdhsa_code_object_version 6
	.protected	fft_rtc_back_len125_factors_5_5_5_wgs_250_tpt_25_sp_op_CI_CI_sbrc_xy_z_diag ; -- Begin function fft_rtc_back_len125_factors_5_5_5_wgs_250_tpt_25_sp_op_CI_CI_sbrc_xy_z_diag
	.globl	fft_rtc_back_len125_factors_5_5_5_wgs_250_tpt_25_sp_op_CI_CI_sbrc_xy_z_diag
	.p2align	8
	.type	fft_rtc_back_len125_factors_5_5_5_wgs_250_tpt_25_sp_op_CI_CI_sbrc_xy_z_diag,@function
fft_rtc_back_len125_factors_5_5_5_wgs_250_tpt_25_sp_op_CI_CI_sbrc_xy_z_diag: ; @fft_rtc_back_len125_factors_5_5_5_wgs_250_tpt_25_sp_op_CI_CI_sbrc_xy_z_diag
; %bb.0:
	s_load_dwordx8 s[8:15], s[4:5], 0x0
	s_waitcnt lgkmcnt(0)
	s_load_dwordx4 s[0:3], s[12:13], 0x8
	s_nop 0
	s_load_dwordx2 s[12:13], s[4:5], 0x20
	s_load_dwordx4 s[16:19], s[4:5], 0x58
	s_load_dwordx4 s[20:23], s[14:15], 0x0
	s_load_dword s25, s[14:15], 0x10
	s_waitcnt lgkmcnt(0)
	s_add_i32 s1, s2, -1
	s_mul_hi_u32 s1, s1, 0xcccccccd
	s_lshr_b32 s1, s1, 3
	s_add_i32 s1, s1, 1
	s_mul_i32 s7, s1, s0
	v_cvt_f32_u32_e32 v1, s7
	s_sub_i32 s4, 0, s7
	s_load_dwordx4 s[0:3], s[12:13], 0x0
	s_waitcnt lgkmcnt(0)
	s_load_dword s3, s[12:13], 0x10
	v_rcp_iflag_f32_e32 v1, v1
	v_mul_f32_e32 v1, 0x4f7ffffe, v1
	v_cvt_u32_f32_e32 v1, v1
	v_readfirstlane_b32 s5, v1
	s_mul_i32 s4, s4, s5
	s_mul_hi_u32 s4, s5, s4
	s_add_i32 s5, s5, s4
	s_mul_hi_u32 s4, s6, s5
	s_mul_i32 s5, s4, s7
	s_sub_i32 s5, s6, s5
	s_add_i32 s23, s4, 1
	s_sub_i32 s24, s5, s7
	s_cmp_ge_u32 s5, s7
	s_cselect_b32 s4, s23, s4
	s_cselect_b32 s5, s24, s5
	s_add_i32 s23, s4, 1
	s_cmp_ge_u32 s5, s7
	s_cselect_b32 s23, s23, s4
	s_mul_i32 s4, s23, s7
	s_sub_i32 s4, s6, s4
	s_mul_hi_u32 s5, s4, 0x51eb851f
	s_lshr_b32 s5, s5, 3
	s_mul_i32 s6, s5, 25
	s_sub_i32 s4, s4, s6
	s_add_i32 s6, s5, s4
	s_mul_hi_u32 s5, s6, 0x10624dd3
	s_mul_i32 s4, s4, 10
	s_lshr_b32 s27, s5, 3
	s_mul_i32 s24, s1, s4
	s_mul_hi_u32 s26, s0, s4
	s_mulk_i32 s27, 0x7d
	s_add_i32 s5, s26, s24
	s_sub_i32 s24, s6, s27
	s_mul_i32 s7, s4, s25
	s_mul_i32 s6, s24, s22
	s_lshl_b64 s[10:11], s[10:11], 3
	s_add_i32 s6, s6, s7
	s_add_u32 s14, s14, s10
	s_addc_u32 s15, s15, s11
	s_load_dwordx2 s[14:15], s[14:15], 0x0
	v_mul_u32_u24_e32 v1, 0x20d, v0
	v_lshrrev_b32_e32 v19, 16, v1
	v_mul_lo_u16_e32 v1, 0x7d, v19
	v_sub_u16_e32 v20, v0, v1
	s_waitcnt lgkmcnt(0)
	s_mul_i32 s15, s15, s23
	s_mul_hi_u32 s22, s14, s23
	s_add_i32 s15, s22, s15
	s_add_u32 s10, s12, s10
	v_mad_u64_u32 v[3:4], s[26:27], s20, v20, 0
	s_addc_u32 s11, s13, s11
	s_load_dwordx2 s[10:11], s[10:11], 0x0
	v_mov_b32_e32 v1, v4
	v_mad_u64_u32 v[1:2], s[12:13], s21, v20, v[1:2]
	s_mul_i32 s14, s14, s23
	s_waitcnt lgkmcnt(0)
	s_mul_i32 s11, s11, s23
	s_mul_hi_u32 s12, s10, s23
	s_add_i32 s11, s12, s11
	s_lshl_b64 s[12:13], s[14:15], 3
	s_mov_b32 s7, 0
	s_add_u32 s14, s16, s12
	v_mov_b32_e32 v4, v1
	v_mul_lo_u32 v1, s25, v19
	s_addc_u32 s15, s17, s13
	s_lshl_b64 s[12:13], s[6:7], 3
	s_add_u32 s6, s14, s12
	v_lshlrev_b64 v[3:4], 3, v[3:4]
	s_addc_u32 s12, s15, s13
	v_mov_b32_e32 v2, 0
	v_mov_b32_e32 v5, s12
	v_add_co_u32_e32 v21, vcc, s6, v3
	v_addc_co_u32_e32 v22, vcc, v5, v4, vcc
	v_lshlrev_b64 v[3:4], 3, v[1:2]
	s_lshl_b32 s6, s25, 1
	v_add_u32_e32 v1, s6, v1
	v_add_co_u32_e32 v3, vcc, v21, v3
	v_lshlrev_b64 v[5:6], 3, v[1:2]
	v_addc_co_u32_e32 v4, vcc, v22, v4, vcc
	v_add_u32_e32 v1, s6, v1
	v_add_co_u32_e32 v5, vcc, v21, v5
	v_lshlrev_b64 v[7:8], 3, v[1:2]
	v_addc_co_u32_e32 v6, vcc, v22, v6, vcc
	;; [unrolled: 4-line block ×3, first 2 shown]
	v_add_co_u32_e32 v9, vcc, v21, v9
	v_add_u32_e32 v1, s6, v1
	v_addc_co_u32_e32 v10, vcc, v22, v10, vcc
	global_load_dwordx2 v[11:12], v[3:4], off
	global_load_dwordx2 v[13:14], v[5:6], off
	;; [unrolled: 1-line block ×4, first 2 shown]
	v_lshlrev_b64 v[3:4], 3, v[1:2]
	v_mov_b32_e32 v1, 25
	v_add_co_u32_e32 v3, vcc, v21, v3
	v_addc_co_u32_e32 v4, vcc, v22, v4, vcc
	global_load_dwordx2 v[5:6], v[3:4], off
	v_mul_u32_u24_e32 v3, 0xa3e, v0
	v_mul_lo_u16_sdwa v1, v3, v1 dst_sel:DWORD dst_unused:UNUSED_PAD src0_sel:WORD_1 src1_sel:DWORD
	v_mul_u32_u24_e32 v4, 0x3e8, v19
	v_lshlrev_b32_e32 v7, 3, v20
	v_add_u16_sdwa v3, v3, s4 dst_sel:DWORD dst_unused:UNUSED_PAD src0_sel:WORD_1 src1_sel:DWORD
	v_add3_u32 v7, 0, v4, v7
	v_mul_u32_u24_e32 v4, 0xcccd, v3
	v_lshrrev_b32_e32 v4, 19, v4
	v_mul_lo_u16_e32 v4, 10, v4
	v_sub_u16_e32 v3, v3, v4
	v_sub_u16_e32 v19, v0, v1
	v_mul_lo_u16_e32 v3, 0x7d, v3
	v_lshlrev_b32_e32 v1, 3, v19
	v_lshlrev_b32_e32 v4, 3, v3
	v_add_u32_e32 v8, 0xf80, v7
	v_add3_u32 v3, 0, v4, v1
	v_add3_u32 v1, 0, v1, v4
	s_movk_i32 s6, 0xcd
	s_mul_i32 s4, s0, s4
	s_mul_i32 s10, s10, s23
	s_waitcnt vmcnt(3)
	ds_write2_b64 v7, v[11:12], v[13:14] offset1:250
	s_waitcnt vmcnt(1)
	ds_write2_b64 v8, v[15:16], v[17:18] offset0:4 offset1:254
	s_waitcnt vmcnt(0)
	ds_write_b64 v7, v[5:6] offset:8000
	s_waitcnt lgkmcnt(0)
	s_barrier
	ds_read_b64 v[13:14], v3
	ds_read2_b64 v[5:8], v1 offset0:25 offset1:50
	ds_read2_b64 v[9:12], v1 offset0:75 offset1:100
	s_waitcnt lgkmcnt(0)
	s_barrier
	v_add_f32_e32 v15, v13, v5
	v_add_f32_e32 v17, v14, v6
	;; [unrolled: 1-line block ×3, first 2 shown]
	v_sub_f32_e32 v21, v5, v7
	v_add_f32_e32 v22, v5, v11
	v_sub_f32_e32 v23, v7, v5
	v_sub_f32_e32 v25, v5, v11
	;; [unrolled: 1-line block ×3, first 2 shown]
	v_add_f32_e32 v5, v15, v7
	v_add_f32_e32 v7, v17, v8
	v_sub_f32_e32 v18, v6, v12
	v_sub_f32_e32 v15, v6, v8
	v_add_f32_e32 v17, v6, v12
	v_sub_f32_e32 v27, v8, v6
	v_add_f32_e32 v6, v7, v10
	v_sub_f32_e32 v7, v11, v9
	v_sub_f32_e32 v20, v8, v10
	v_add_f32_e32 v24, v8, v10
	v_add_f32_e32 v5, v5, v9
	;; [unrolled: 1-line block ×3, first 2 shown]
	v_sub_f32_e32 v28, v12, v10
	v_sub_f32_e32 v12, v10, v12
	v_add_f32_e32 v10, v21, v7
	v_fma_f32 v7, -0.5, v16, v13
	v_fma_f32 v13, -0.5, v22, v13
	v_add_f32_e32 v5, v5, v11
	v_sub_f32_e32 v8, v9, v11
	v_mov_b32_e32 v11, v13
	v_mov_b32_e32 v9, v7
	v_fmac_f32_e32 v11, 0x3f737871, v20
	v_fmac_f32_e32 v13, 0xbf737871, v20
	v_fmac_f32_e32 v9, 0xbf737871, v18
	v_fmac_f32_e32 v7, 0x3f737871, v18
	v_add_f32_e32 v8, v23, v8
	v_fmac_f32_e32 v11, 0xbf167918, v18
	v_fmac_f32_e32 v13, 0x3f167918, v18
	;; [unrolled: 1-line block ×6, first 2 shown]
	v_fma_f32 v8, -0.5, v24, v14
	v_fmac_f32_e32 v9, 0x3e9e377a, v10
	v_fmac_f32_e32 v7, 0x3e9e377a, v10
	v_mov_b32_e32 v10, v8
	v_fmac_f32_e32 v10, 0x3f737871, v25
	v_fmac_f32_e32 v8, 0xbf737871, v25
	v_add_f32_e32 v15, v15, v28
	v_fmac_f32_e32 v10, 0x3f167918, v26
	v_fmac_f32_e32 v8, 0xbf167918, v26
	v_fmac_f32_e32 v14, -0.5, v17
	v_fmac_f32_e32 v10, 0x3e9e377a, v15
	v_fmac_f32_e32 v8, 0x3e9e377a, v15
	v_add_f32_e32 v15, v27, v12
	v_mov_b32_e32 v12, v14
	v_fmac_f32_e32 v12, 0xbf737871, v26
	v_fmac_f32_e32 v14, 0x3f737871, v26
	;; [unrolled: 1-line block ×4, first 2 shown]
	v_lshlrev_b32_e32 v17, 5, v19
	v_fmac_f32_e32 v12, 0x3e9e377a, v15
	v_fmac_f32_e32 v14, 0x3e9e377a, v15
	v_add_u32_e32 v15, v1, v17
	ds_write2_b64 v15, v[5:6], v[9:10] offset1:1
	ds_write2_b64 v15, v[11:12], v[13:14] offset0:2 offset1:3
	ds_write_b64 v15, v[7:8] offset:32
	v_mul_lo_u16_sdwa v5, v19, s6 dst_sel:DWORD dst_unused:UNUSED_PAD src0_sel:BYTE_0 src1_sel:DWORD
	v_lshrrev_b16_e32 v18, 10, v5
	v_mul_lo_u16_e32 v5, 5, v18
	v_sub_u16_e32 v19, v19, v5
	v_mov_b32_e32 v5, 5
	v_lshlrev_b32_sdwa v13, v5, v19 dst_sel:DWORD dst_unused:UNUSED_PAD src0_sel:DWORD src1_sel:BYTE_0
	s_waitcnt lgkmcnt(0)
	s_barrier
	global_load_dwordx4 v[5:8], v13, s[8:9]
	global_load_dwordx4 v[9:12], v13, s[8:9] offset:16
	ds_read2_b64 v[13:16], v1 offset0:25 offset1:50
	s_movk_i32 s6, 0xc8
	s_waitcnt vmcnt(1) lgkmcnt(0)
	v_mul_f32_e32 v20, v6, v14
	v_mul_f32_e32 v6, v6, v13
	v_mul_f32_e32 v21, v8, v16
	v_mul_f32_e32 v8, v8, v15
	v_fmac_f32_e32 v20, v5, v13
	v_fma_f32 v22, v5, v14, -v6
	v_fmac_f32_e32 v21, v7, v15
	v_fma_f32 v15, v7, v16, -v8
	ds_read2_b64 v[5:8], v1 offset0:75 offset1:100
	ds_read2_b32 v[13:14], v3 offset1:1
	s_waitcnt vmcnt(0) lgkmcnt(0)
	s_barrier
	v_mul_f32_e32 v16, v10, v6
	v_mul_f32_e32 v23, v12, v8
	v_mul_f32_e32 v10, v10, v5
	v_fmac_f32_e32 v16, v9, v5
	v_fmac_f32_e32 v23, v11, v7
	v_mul_f32_e32 v12, v12, v7
	v_fma_f32 v10, v9, v6, -v10
	v_sub_f32_e32 v5, v20, v21
	v_sub_f32_e32 v6, v23, v16
	v_add_f32_e32 v7, v21, v16
	v_fma_f32 v24, v11, v8, -v12
	v_add_f32_e32 v6, v5, v6
	v_fma_f32 v5, -0.5, v7, v13
	v_sub_f32_e32 v8, v22, v24
	v_mov_b32_e32 v7, v5
	v_fmac_f32_e32 v7, 0xbf737871, v8
	v_sub_f32_e32 v11, v15, v10
	v_fmac_f32_e32 v5, 0x3f737871, v8
	v_fmac_f32_e32 v7, 0xbf167918, v11
	;; [unrolled: 1-line block ×3, first 2 shown]
	v_add_f32_e32 v9, v20, v23
	v_fmac_f32_e32 v7, 0x3e9e377a, v6
	v_fmac_f32_e32 v5, 0x3e9e377a, v6
	v_add_f32_e32 v6, v20, v13
	v_fma_f32 v13, -0.5, v9, v13
	v_sub_f32_e32 v9, v21, v20
	v_sub_f32_e32 v12, v16, v23
	v_add_f32_e32 v12, v9, v12
	v_mov_b32_e32 v9, v13
	v_fmac_f32_e32 v9, 0x3f737871, v11
	v_fmac_f32_e32 v13, 0xbf737871, v11
	;; [unrolled: 1-line block ×4, first 2 shown]
	v_add_f32_e32 v6, v6, v21
	v_add_f32_e32 v8, v14, v22
	;; [unrolled: 1-line block ×7, first 2 shown]
	v_fmac_f32_e32 v9, 0x3e9e377a, v12
	v_fmac_f32_e32 v13, 0x3e9e377a, v12
	v_add_f32_e32 v12, v8, v24
	v_fma_f32 v6, -0.5, v6, v14
	v_sub_f32_e32 v16, v21, v16
	v_sub_f32_e32 v8, v22, v15
	;; [unrolled: 1-line block ×4, first 2 shown]
	v_add_f32_e32 v21, v8, v21
	v_mov_b32_e32 v8, v6
	v_fmac_f32_e32 v8, 0x3f737871, v20
	v_fmac_f32_e32 v6, 0xbf737871, v20
	;; [unrolled: 1-line block ×6, first 2 shown]
	v_add_f32_e32 v21, v22, v24
	v_fmac_f32_e32 v14, -0.5, v21
	v_sub_f32_e32 v15, v15, v22
	v_sub_f32_e32 v10, v10, v24
	v_add_f32_e32 v15, v15, v10
	v_mov_b32_e32 v10, v14
	v_fmac_f32_e32 v10, 0xbf737871, v16
	v_fmac_f32_e32 v14, 0x3f737871, v16
	;; [unrolled: 1-line block ×4, first 2 shown]
	v_mov_b32_e32 v16, 3
	v_fmac_f32_e32 v10, 0x3e9e377a, v15
	v_fmac_f32_e32 v14, 0x3e9e377a, v15
	v_mad_u32_u24 v15, v18, s6, 0
	v_lshlrev_b32_sdwa v16, v16, v19 dst_sel:DWORD dst_unused:UNUSED_PAD src0_sel:DWORD src1_sel:BYTE_0
	v_add3_u32 v4, v15, v16, v4
	ds_write2_b64 v4, v[11:12], v[7:8] offset1:5
	ds_write2_b64 v4, v[9:10], v[13:14] offset0:10 offset1:15
	ds_write_b64 v4, v[5:6] offset:160
	s_waitcnt lgkmcnt(0)
	s_barrier
	global_load_dwordx4 v[4:7], v17, s[8:9] offset:160
	global_load_dwordx4 v[8:11], v17, s[8:9] offset:176
	ds_read2_b64 v[12:15], v1 offset0:25 offset1:50
	ds_read2_b64 v[16:19], v1 offset0:75 offset1:100
	s_mul_i32 s6, s24, s3
	s_waitcnt vmcnt(1) lgkmcnt(1)
	v_mul_f32_e32 v20, v5, v13
	v_mul_f32_e32 v5, v5, v12
	v_fmac_f32_e32 v20, v4, v12
	v_fma_f32 v13, v4, v13, -v5
	ds_read2_b32 v[3:4], v3 offset1:1
	v_mul_f32_e32 v21, v7, v15
	s_waitcnt vmcnt(0) lgkmcnt(1)
	v_mul_f32_e32 v22, v9, v17
	v_mul_f32_e32 v23, v11, v19
	v_fmac_f32_e32 v21, v6, v14
	v_fmac_f32_e32 v22, v8, v16
	v_mul_f32_e32 v5, v11, v18
	v_mul_f32_e32 v7, v7, v14
	;; [unrolled: 1-line block ×3, first 2 shown]
	v_fmac_f32_e32 v23, v10, v18
	v_fma_f32 v16, v10, v19, -v5
	v_add_f32_e32 v5, v21, v22
	v_fma_f32 v14, v6, v15, -v7
	v_fma_f32 v15, v8, v17, -v9
	s_waitcnt lgkmcnt(0)
	v_fma_f32 v5, -0.5, v5, v3
	v_sub_f32_e32 v7, v20, v21
	v_sub_f32_e32 v8, v23, v22
	;; [unrolled: 1-line block ×3, first 2 shown]
	v_add_f32_e32 v8, v7, v8
	v_mov_b32_e32 v7, v5
	v_fmac_f32_e32 v7, 0xbf737871, v6
	v_sub_f32_e32 v10, v14, v15
	v_fmac_f32_e32 v5, 0x3f737871, v6
	v_fmac_f32_e32 v7, 0xbf167918, v10
	;; [unrolled: 1-line block ×3, first 2 shown]
	v_add_f32_e32 v9, v20, v23
	v_fmac_f32_e32 v7, 0x3e9e377a, v8
	v_fmac_f32_e32 v5, 0x3e9e377a, v8
	v_add_f32_e32 v8, v20, v3
	v_fma_f32 v3, -0.5, v9, v3
	v_sub_f32_e32 v9, v21, v20
	v_sub_f32_e32 v11, v22, v23
	v_add_f32_e32 v11, v9, v11
	v_mov_b32_e32 v9, v3
	v_fmac_f32_e32 v9, 0x3f737871, v10
	v_fmac_f32_e32 v3, 0xbf737871, v10
	;; [unrolled: 1-line block ×4, first 2 shown]
	v_add_f32_e32 v6, v8, v21
	v_add_f32_e32 v8, v4, v13
	;; [unrolled: 1-line block ×4, first 2 shown]
	v_fmac_f32_e32 v9, 0x3e9e377a, v11
	v_fmac_f32_e32 v3, 0x3e9e377a, v11
	v_add_f32_e32 v8, v8, v15
	v_add_f32_e32 v11, v6, v23
	;; [unrolled: 1-line block ×4, first 2 shown]
	v_fma_f32 v6, -0.5, v6, v4
	v_sub_f32_e32 v8, v13, v14
	v_sub_f32_e32 v10, v16, v15
	;; [unrolled: 1-line block ×3, first 2 shown]
	v_add_f32_e32 v10, v8, v10
	v_mov_b32_e32 v8, v6
	v_sub_f32_e32 v18, v21, v22
	v_fmac_f32_e32 v8, 0x3f737871, v17
	v_fmac_f32_e32 v6, 0xbf737871, v17
	;; [unrolled: 1-line block ×6, first 2 shown]
	v_add_f32_e32 v10, v13, v16
	v_fmac_f32_e32 v4, -0.5, v10
	v_mov_b32_e32 v10, v4
	v_fmac_f32_e32 v10, 0xbf737871, v18
	v_sub_f32_e32 v13, v14, v13
	v_sub_f32_e32 v14, v15, v16
	v_fmac_f32_e32 v4, 0x3f737871, v18
	v_fmac_f32_e32 v10, 0x3f167918, v17
	v_add_f32_e32 v13, v13, v14
	v_fmac_f32_e32 v4, 0xbf167918, v17
	v_fmac_f32_e32 v10, 0x3e9e377a, v13
	;; [unrolled: 1-line block ×3, first 2 shown]
	v_mul_u32_u24_e32 v13, 0x199a, v0
	v_lshrrev_b32_e32 v15, 16, v13
	v_mul_lo_u16_e32 v13, 10, v15
	v_sub_u16_e32 v16, v0, v13
	v_mad_u64_u32 v[13:14], s[8:9], s0, v16, 0
	s_barrier
	v_mov_b32_e32 v0, v14
	ds_write2_b64 v1, v[11:12], v[7:8] offset1:25
	ds_write2_b64 v1, v[9:10], v[3:4] offset0:50 offset1:75
	ds_write_b64 v1, v[5:6] offset:800
	v_mad_u64_u32 v[0:1], s[0:1], s1, v16, v[0:1]
	s_lshl_b64 s[0:1], s[10:11], 3
	s_add_u32 s3, s18, s0
	s_addc_u32 s8, s19, s1
	s_lshl_b64 s[0:1], s[4:5], 3
	s_add_u32 s3, s3, s0
	v_mov_b32_e32 v14, v0
	v_mul_lo_u32 v1, s2, v15
	v_mul_lo_u16_e32 v0, 0x7d, v16
	s_addc_u32 s4, s8, s1
	s_lshl_b64 s[0:1], s[6:7], 3
	v_lshlrev_b32_e32 v0, 3, v0
	v_lshlrev_b32_e32 v7, 3, v15
	s_add_u32 s0, s3, s0
	v_lshlrev_b64 v[5:6], 3, v[13:14]
	v_add3_u32 v3, 0, v0, v7
	s_addc_u32 s1, s4, s1
	s_waitcnt lgkmcnt(0)
	s_barrier
	ds_read_b64 v[3:4], v3
	v_mov_b32_e32 v8, s1
	v_add_co_u32_e32 v9, vcc, s0, v5
	v_addc_co_u32_e32 v10, vcc, v8, v6, vcc
	v_lshlrev_b64 v[5:6], 3, v[1:2]
	s_mul_i32 s0, s2, 25
	v_add_co_u32_e32 v5, vcc, v9, v5
	v_addc_co_u32_e32 v6, vcc, v10, v6, vcc
	v_add3_u32 v0, 0, v7, v0
	s_waitcnt lgkmcnt(0)
	global_store_dwordx2 v[5:6], v[3:4], off
	v_add_u32_e32 v1, s0, v1
	ds_read2_b64 v[3:6], v0 offset0:25 offset1:50
	v_lshlrev_b64 v[7:8], 3, v[1:2]
	v_add_u32_e32 v1, s0, v1
	v_add_co_u32_e32 v7, vcc, v9, v7
	v_addc_co_u32_e32 v8, vcc, v10, v8, vcc
	s_waitcnt lgkmcnt(0)
	global_store_dwordx2 v[7:8], v[3:4], off
	v_lshlrev_b64 v[3:4], 3, v[1:2]
	v_add_u32_e32 v1, s0, v1
	v_add_co_u32_e32 v3, vcc, v9, v3
	v_addc_co_u32_e32 v4, vcc, v10, v4, vcc
	v_lshlrev_b64 v[7:8], 3, v[1:2]
	global_store_dwordx2 v[3:4], v[5:6], off
	ds_read2_b64 v[3:6], v0 offset0:75 offset1:100
	v_add_u32_e32 v1, s0, v1
	v_add_co_u32_e32 v7, vcc, v9, v7
	v_lshlrev_b64 v[0:1], 3, v[1:2]
	v_addc_co_u32_e32 v8, vcc, v10, v8, vcc
	v_add_co_u32_e32 v0, vcc, v9, v0
	v_addc_co_u32_e32 v1, vcc, v10, v1, vcc
	s_waitcnt lgkmcnt(0)
	global_store_dwordx2 v[7:8], v[3:4], off
	global_store_dwordx2 v[0:1], v[5:6], off
	s_endpgm
	.section	.rodata,"a",@progbits
	.p2align	6, 0x0
	.amdhsa_kernel fft_rtc_back_len125_factors_5_5_5_wgs_250_tpt_25_sp_op_CI_CI_sbrc_xy_z_diag
		.amdhsa_group_segment_fixed_size 0
		.amdhsa_private_segment_fixed_size 0
		.amdhsa_kernarg_size 104
		.amdhsa_user_sgpr_count 6
		.amdhsa_user_sgpr_private_segment_buffer 1
		.amdhsa_user_sgpr_dispatch_ptr 0
		.amdhsa_user_sgpr_queue_ptr 0
		.amdhsa_user_sgpr_kernarg_segment_ptr 1
		.amdhsa_user_sgpr_dispatch_id 0
		.amdhsa_user_sgpr_flat_scratch_init 0
		.amdhsa_user_sgpr_private_segment_size 0
		.amdhsa_uses_dynamic_stack 0
		.amdhsa_system_sgpr_private_segment_wavefront_offset 0
		.amdhsa_system_sgpr_workgroup_id_x 1
		.amdhsa_system_sgpr_workgroup_id_y 0
		.amdhsa_system_sgpr_workgroup_id_z 0
		.amdhsa_system_sgpr_workgroup_info 0
		.amdhsa_system_vgpr_workitem_id 0
		.amdhsa_next_free_vgpr 29
		.amdhsa_next_free_sgpr 28
		.amdhsa_reserve_vcc 1
		.amdhsa_reserve_flat_scratch 0
		.amdhsa_float_round_mode_32 0
		.amdhsa_float_round_mode_16_64 0
		.amdhsa_float_denorm_mode_32 3
		.amdhsa_float_denorm_mode_16_64 3
		.amdhsa_dx10_clamp 1
		.amdhsa_ieee_mode 1
		.amdhsa_fp16_overflow 0
		.amdhsa_exception_fp_ieee_invalid_op 0
		.amdhsa_exception_fp_denorm_src 0
		.amdhsa_exception_fp_ieee_div_zero 0
		.amdhsa_exception_fp_ieee_overflow 0
		.amdhsa_exception_fp_ieee_underflow 0
		.amdhsa_exception_fp_ieee_inexact 0
		.amdhsa_exception_int_div_zero 0
	.end_amdhsa_kernel
	.text
.Lfunc_end0:
	.size	fft_rtc_back_len125_factors_5_5_5_wgs_250_tpt_25_sp_op_CI_CI_sbrc_xy_z_diag, .Lfunc_end0-fft_rtc_back_len125_factors_5_5_5_wgs_250_tpt_25_sp_op_CI_CI_sbrc_xy_z_diag
                                        ; -- End function
	.section	.AMDGPU.csdata,"",@progbits
; Kernel info:
; codeLenInByte = 2592
; NumSgprs: 32
; NumVgprs: 29
; ScratchSize: 0
; MemoryBound: 0
; FloatMode: 240
; IeeeMode: 1
; LDSByteSize: 0 bytes/workgroup (compile time only)
; SGPRBlocks: 3
; VGPRBlocks: 7
; NumSGPRsForWavesPerEU: 32
; NumVGPRsForWavesPerEU: 29
; Occupancy: 8
; WaveLimiterHint : 1
; COMPUTE_PGM_RSRC2:SCRATCH_EN: 0
; COMPUTE_PGM_RSRC2:USER_SGPR: 6
; COMPUTE_PGM_RSRC2:TRAP_HANDLER: 0
; COMPUTE_PGM_RSRC2:TGID_X_EN: 1
; COMPUTE_PGM_RSRC2:TGID_Y_EN: 0
; COMPUTE_PGM_RSRC2:TGID_Z_EN: 0
; COMPUTE_PGM_RSRC2:TIDIG_COMP_CNT: 0
	.type	__hip_cuid_87c95f751ec6192,@object ; @__hip_cuid_87c95f751ec6192
	.section	.bss,"aw",@nobits
	.globl	__hip_cuid_87c95f751ec6192
__hip_cuid_87c95f751ec6192:
	.byte	0                               ; 0x0
	.size	__hip_cuid_87c95f751ec6192, 1

	.ident	"AMD clang version 19.0.0git (https://github.com/RadeonOpenCompute/llvm-project roc-6.4.0 25133 c7fe45cf4b819c5991fe208aaa96edf142730f1d)"
	.section	".note.GNU-stack","",@progbits
	.addrsig
	.addrsig_sym __hip_cuid_87c95f751ec6192
	.amdgpu_metadata
---
amdhsa.kernels:
  - .args:
      - .actual_access:  read_only
        .address_space:  global
        .offset:         0
        .size:           8
        .value_kind:     global_buffer
      - .offset:         8
        .size:           8
        .value_kind:     by_value
      - .actual_access:  read_only
        .address_space:  global
        .offset:         16
        .size:           8
        .value_kind:     global_buffer
      - .actual_access:  read_only
        .address_space:  global
        .offset:         24
        .size:           8
        .value_kind:     global_buffer
      - .actual_access:  read_only
        .address_space:  global
        .offset:         32
        .size:           8
        .value_kind:     global_buffer
      - .offset:         40
        .size:           8
        .value_kind:     by_value
      - .actual_access:  read_only
        .address_space:  global
        .offset:         48
        .size:           8
        .value_kind:     global_buffer
      - .actual_access:  read_only
        .address_space:  global
        .offset:         56
        .size:           8
        .value_kind:     global_buffer
      - .offset:         64
        .size:           4
        .value_kind:     by_value
      - .actual_access:  read_only
        .address_space:  global
        .offset:         72
        .size:           8
        .value_kind:     global_buffer
      - .actual_access:  read_only
        .address_space:  global
        .offset:         80
        .size:           8
        .value_kind:     global_buffer
      - .actual_access:  read_only
        .address_space:  global
        .offset:         88
        .size:           8
        .value_kind:     global_buffer
      - .actual_access:  write_only
        .address_space:  global
        .offset:         96
        .size:           8
        .value_kind:     global_buffer
    .group_segment_fixed_size: 0
    .kernarg_segment_align: 8
    .kernarg_segment_size: 104
    .language:       OpenCL C
    .language_version:
      - 2
      - 0
    .max_flat_workgroup_size: 250
    .name:           fft_rtc_back_len125_factors_5_5_5_wgs_250_tpt_25_sp_op_CI_CI_sbrc_xy_z_diag
    .private_segment_fixed_size: 0
    .sgpr_count:     32
    .sgpr_spill_count: 0
    .symbol:         fft_rtc_back_len125_factors_5_5_5_wgs_250_tpt_25_sp_op_CI_CI_sbrc_xy_z_diag.kd
    .uniform_work_group_size: 1
    .uses_dynamic_stack: false
    .vgpr_count:     29
    .vgpr_spill_count: 0
    .wavefront_size: 64
amdhsa.target:   amdgcn-amd-amdhsa--gfx906
amdhsa.version:
  - 1
  - 2
...

	.end_amdgpu_metadata
